;; amdgpu-corpus repo=zjin-lcf/HeCBench kind=compiled arch=gfx906 opt=O3
	.amdgcn_target "amdgcn-amd-amdhsa--gfx906"
	.amdhsa_code_object_version 6
	.text
	.protected	_Z19bit_rev_permutationPlPKlj ; -- Begin function _Z19bit_rev_permutationPlPKlj
	.globl	_Z19bit_rev_permutationPlPKlj
	.p2align	8
	.type	_Z19bit_rev_permutationPlPKlj,@function
_Z19bit_rev_permutationPlPKlj:          ; @_Z19bit_rev_permutationPlPKlj
; %bb.0:
	s_load_dword s7, s[4:5], 0x18
	s_load_dword s10, s[4:5], 0x24
	;; [unrolled: 1-line block ×3, first 2 shown]
	s_load_dwordx4 s[0:3], s[4:5], 0x0
	s_waitcnt lgkmcnt(0)
	s_cmp_eq_u32 s7, 1
	s_cselect_b64 s[8:9], -1, 0
	s_and_b32 s4, s10, 0xffff
	s_lshl_b32 s5, 1, s12
	s_cmp_eq_u32 s5, s4
	s_cselect_b64 s[10:11], -1, 0
	s_and_b64 s[8:9], s[8:9], s[10:11]
	s_andn2_b64 vcc, exec, s[8:9]
	s_cbranch_vccz .LBB0_6
; %bb.1:
	s_mul_i32 s6, s6, s4
	v_add_u32_e32 v3, s6, v0
	v_bfrev_b32_e32 v1, v3
	s_sub_i32 s4, 32, s12
	v_lshrrev_b32_e32 v5, s4, v1
	s_cmp_lg_u64 s[0:1], s[2:3]
	s_cselect_b64 s[4:5], -1, 0
	v_cmp_eq_u32_e32 vcc, v3, v5
	s_and_b64 s[10:11], s[4:5], vcc
	v_cmp_lt_u32_e32 vcc, v3, v5
	s_or_b64 s[6:7], vcc, s[10:11]
	s_mov_b64 s[4:5], 0
	s_mov_b64 s[8:9], 0
                                        ; implicit-def: $vgpr1_vgpr2
	s_and_saveexec_b64 s[14:15], s[6:7]
	s_xor_b64 s[6:7], exec, s[14:15]
	s_cbranch_execz .LBB0_5
; %bb.2:
	v_mov_b32_e32 v4, 0
	v_lshlrev_b64 v[7:8], 3, v[3:4]
	v_mov_b32_e32 v2, s3
	v_add_co_u32_e32 v1, vcc, s2, v7
	v_addc_co_u32_e32 v2, vcc, v2, v8, vcc
	global_load_dwordx2 v[1:2], v[1:2], off
	s_xor_b64 s[10:11], s[10:11], -1
	s_and_saveexec_b64 s[8:9], s[10:11]
	s_cbranch_execz .LBB0_4
; %bb.3:
	v_mov_b32_e32 v6, v4
	v_lshlrev_b64 v[3:4], 3, v[5:6]
	v_mov_b32_e32 v9, s3
	v_add_co_u32_e32 v3, vcc, s2, v3
	v_addc_co_u32_e32 v4, vcc, v9, v4, vcc
	global_load_dwordx2 v[3:4], v[3:4], off
	v_mov_b32_e32 v9, s1
	v_add_co_u32_e32 v7, vcc, s0, v7
	v_addc_co_u32_e32 v8, vcc, v9, v8, vcc
	s_waitcnt vmcnt(0)
	global_store_dwordx2 v[7:8], v[3:4], off
	v_mov_b32_e32 v3, v5
	v_mov_b32_e32 v4, v6
.LBB0_4:
	s_or_b64 exec, exec, s[8:9]
	s_mov_b64 s[8:9], exec
.LBB0_5:
	s_or_b64 exec, exec, s[6:7]
	s_and_b64 vcc, exec, s[4:5]
	s_cbranch_vccnz .LBB0_7
	s_branch .LBB0_10
.LBB0_6:
	s_mov_b64 s[8:9], 0
                                        ; implicit-def: $vgpr1_vgpr2
                                        ; implicit-def: $vgpr3_vgpr4
	s_cbranch_execz .LBB0_10
.LBB0_7:
	s_waitcnt vmcnt(0)
	v_lshlrev_b32_e32 v1, 3, v0
	global_load_dwordx2 v[1:2], v1, s[2:3]
	s_cmp_lg_u64 s[0:1], s[2:3]
	s_cbranch_scc1 .LBB0_9
; %bb.8:
	s_waitcnt vmcnt(0)
	s_barrier
.LBB0_9:
	v_bfrev_b32_e32 v0, v0
	s_sub_i32 s2, 32, s12
	v_lshrrev_b32_e32 v3, s2, v0
	v_mov_b32_e32 v4, 0
	s_mov_b64 s[8:9], -1
.LBB0_10:
	s_and_saveexec_b64 s[2:3], s[8:9]
	s_cbranch_execnz .LBB0_12
; %bb.11:
	s_endpgm
.LBB0_12:
	v_lshlrev_b64 v[3:4], 3, v[3:4]
	v_mov_b32_e32 v0, s1
	v_add_co_u32_e32 v3, vcc, s0, v3
	v_addc_co_u32_e32 v4, vcc, v0, v4, vcc
	s_waitcnt vmcnt(0)
	global_store_dwordx2 v[3:4], v[1:2], off
	s_endpgm
	.section	.rodata,"a",@progbits
	.p2align	6, 0x0
	.amdhsa_kernel _Z19bit_rev_permutationPlPKlj
		.amdhsa_group_segment_fixed_size 0
		.amdhsa_private_segment_fixed_size 0
		.amdhsa_kernarg_size 280
		.amdhsa_user_sgpr_count 6
		.amdhsa_user_sgpr_private_segment_buffer 1
		.amdhsa_user_sgpr_dispatch_ptr 0
		.amdhsa_user_sgpr_queue_ptr 0
		.amdhsa_user_sgpr_kernarg_segment_ptr 1
		.amdhsa_user_sgpr_dispatch_id 0
		.amdhsa_user_sgpr_flat_scratch_init 0
		.amdhsa_user_sgpr_private_segment_size 0
		.amdhsa_uses_dynamic_stack 0
		.amdhsa_system_sgpr_private_segment_wavefront_offset 0
		.amdhsa_system_sgpr_workgroup_id_x 1
		.amdhsa_system_sgpr_workgroup_id_y 0
		.amdhsa_system_sgpr_workgroup_id_z 0
		.amdhsa_system_sgpr_workgroup_info 0
		.amdhsa_system_vgpr_workitem_id 0
		.amdhsa_next_free_vgpr 10
		.amdhsa_next_free_sgpr 16
		.amdhsa_reserve_vcc 1
		.amdhsa_reserve_flat_scratch 0
		.amdhsa_float_round_mode_32 0
		.amdhsa_float_round_mode_16_64 0
		.amdhsa_float_denorm_mode_32 3
		.amdhsa_float_denorm_mode_16_64 3
		.amdhsa_dx10_clamp 1
		.amdhsa_ieee_mode 1
		.amdhsa_fp16_overflow 0
		.amdhsa_exception_fp_ieee_invalid_op 0
		.amdhsa_exception_fp_denorm_src 0
		.amdhsa_exception_fp_ieee_div_zero 0
		.amdhsa_exception_fp_ieee_overflow 0
		.amdhsa_exception_fp_ieee_underflow 0
		.amdhsa_exception_fp_ieee_inexact 0
		.amdhsa_exception_int_div_zero 0
	.end_amdhsa_kernel
	.text
.Lfunc_end0:
	.size	_Z19bit_rev_permutationPlPKlj, .Lfunc_end0-_Z19bit_rev_permutationPlPKlj
                                        ; -- End function
	.set _Z19bit_rev_permutationPlPKlj.num_vgpr, 10
	.set _Z19bit_rev_permutationPlPKlj.num_agpr, 0
	.set _Z19bit_rev_permutationPlPKlj.numbered_sgpr, 16
	.set _Z19bit_rev_permutationPlPKlj.num_named_barrier, 0
	.set _Z19bit_rev_permutationPlPKlj.private_seg_size, 0
	.set _Z19bit_rev_permutationPlPKlj.uses_vcc, 1
	.set _Z19bit_rev_permutationPlPKlj.uses_flat_scratch, 0
	.set _Z19bit_rev_permutationPlPKlj.has_dyn_sized_stack, 0
	.set _Z19bit_rev_permutationPlPKlj.has_recursion, 0
	.set _Z19bit_rev_permutationPlPKlj.has_indirect_call, 0
	.section	.AMDGPU.csdata,"",@progbits
; Kernel info:
; codeLenInByte = 380
; TotalNumSgprs: 20
; NumVgprs: 10
; ScratchSize: 0
; MemoryBound: 0
; FloatMode: 240
; IeeeMode: 1
; LDSByteSize: 0 bytes/workgroup (compile time only)
; SGPRBlocks: 2
; VGPRBlocks: 2
; NumSGPRsForWavesPerEU: 20
; NumVGPRsForWavesPerEU: 10
; Occupancy: 10
; WaveLimiterHint : 0
; COMPUTE_PGM_RSRC2:SCRATCH_EN: 0
; COMPUTE_PGM_RSRC2:USER_SGPR: 6
; COMPUTE_PGM_RSRC2:TRAP_HANDLER: 0
; COMPUTE_PGM_RSRC2:TGID_X_EN: 1
; COMPUTE_PGM_RSRC2:TGID_Y_EN: 0
; COMPUTE_PGM_RSRC2:TGID_Z_EN: 0
; COMPUTE_PGM_RSRC2:TIDIG_COMP_CNT: 0
	.text
	.protected	_Z21bit_rev_permutation_zPlPKlj ; -- Begin function _Z21bit_rev_permutation_zPlPKlj
	.globl	_Z21bit_rev_permutation_zPlPKlj
	.p2align	8
	.type	_Z21bit_rev_permutation_zPlPKlj,@function
_Z21bit_rev_permutation_zPlPKlj:        ; @_Z21bit_rev_permutation_zPlPKlj
; %bb.0:
	s_mov_b64 s[54:55], s[2:3]
	s_mov_b64 s[52:53], s[0:1]
	s_load_dwordx4 s[8:11], s[4:5], 0x0
	s_load_dword s0, s[4:5], 0x10
	s_load_dword s1, s[4:5], 0x18
	;; [unrolled: 1-line block ×3, first 2 shown]
	v_and_b32_e32 v36, 31, v0
	v_bfrev_b32_e32 v1, v36
	v_lshlrev_b32_e32 v3, 8, v0
	s_add_u32 s52, s52, s7
	v_lshrrev_b32_e32 v2, 27, v1
	v_and_b32_e32 v3, 0x3e000, v3
	v_lshrrev_b32_e32 v1, 24, v1
	s_addc_u32 s53, s53, 0
	s_waitcnt lgkmcnt(0)
	s_add_i32 s12, s0, -5
	s_and_b32 s2, s2, 0xffff
	v_add3_u32 v63, 0, v3, v1
	v_mul_u32_u24_e32 v1, 0xf8, v2
	s_add_i32 s48, s6, s1
	s_mul_i32 s13, s6, s2
	s_sub_i32 s14, 42, s0
	s_mul_i32 s15, s1, s2
	s_lshl_b32 s16, 1, s12
	s_lshl_b32 s17, 2, s12
	;; [unrolled: 1-line block ×31, first 2 shown]
	s_mul_i32 s48, s48, s2
	s_mov_b64 s[2:3], 0
	s_movk_i32 s49, 0xffe0
	v_mov_b32_e32 v2, 0
	v_add_u32_e32 v11, v63, v1
	s_branch .LBB1_2
.LBB1_1:                                ;   in Loop: Header=BB1_2 Depth=1
	s_or_b64 exec, exec, s[4:5]
	v_add_u32_e32 v1, s48, v0
	v_lshrrev_b32_e32 v1, s12, v1
	v_cmp_ne_u32_e32 vcc, 0, v1
	s_or_b64 s[2:3], vcc, s[2:3]
	v_add_u32_e32 v0, s15, v0
	s_andn2_b64 exec, exec, s[2:3]
	s_cbranch_execz .LBB1_69
.LBB1_2:                                ; =>This Inner Loop Header: Depth=1
	v_add_u32_e32 v1, s13, v0
	v_lshrrev_b32_e32 v3, 5, v1
	v_bfrev_b32_e32 v4, v3
	v_lshrrev_b32_e32 v4, s14, v4
	v_cmp_le_u32_e32 vcc, v3, v4
	s_and_saveexec_b64 s[4:5], vcc
	s_cbranch_execz .LBB1_1
; %bb.3:                                ;   in Loop: Header=BB1_2 Depth=1
	v_and_or_b32 v1, v1, s49, v36
	v_lshlrev_b64 v[7:8], 3, v[1:2]
	v_mov_b32_e32 v6, s11
	v_add_co_u32_e32 v5, vcc, s10, v7
	buffer_store_dword v7, off, s[52:55], 0 offset:272 ; 4-byte Folded Spill
	s_nop 0
	buffer_store_dword v8, off, s[52:55], 0 offset:276 ; 4-byte Folded Spill
	v_lshl_or_b32 v9, v4, 5, v36
	v_addc_co_u32_e32 v6, vcc, v6, v8, vcc
	global_load_dwordx2 v[5:6], v[5:6], off
	v_cmp_ne_u32_e32 vcc, v3, v4
	s_waitcnt vmcnt(0)
	buffer_store_dword v5, off, s[52:55], 0 offset:16 ; 4-byte Folded Spill
	s_nop 0
	buffer_store_dword v6, off, s[52:55], 0 offset:20 ; 4-byte Folded Spill
	ds_write_b64 v63, v[5:6]
	s_and_saveexec_b64 s[6:7], vcc
	s_cbranch_execz .LBB1_5
; %bb.4:                                ;   in Loop: Header=BB1_2 Depth=1
	v_mov_b32_e32 v10, v2
	v_lshlrev_b64 v[3:4], 3, v[9:10]
	v_mov_b32_e32 v5, s11
	v_add_co_u32_e64 v3, s[0:1], s10, v3
	v_addc_co_u32_e64 v4, s[0:1], v5, v4, s[0:1]
	global_load_dwordx2 v[3:4], v[3:4], off
	s_waitcnt vmcnt(0)
	buffer_store_dword v3, off, s[52:55], 0 offset:16 ; 4-byte Folded Spill
	s_nop 0
	buffer_store_dword v4, off, s[52:55], 0 offset:20 ; 4-byte Folded Spill
.LBB1_5:                                ;   in Loop: Header=BB1_2 Depth=1
	s_or_b64 exec, exec, s[6:7]
	v_add_u32_e32 v3, s16, v1
	v_mov_b32_e32 v4, v2
	v_lshlrev_b64 v[5:6], 3, v[3:4]
	v_mov_b32_e32 v4, s11
	v_add_co_u32_e64 v3, s[0:1], s10, v5
	buffer_store_dword v5, off, s[52:55], 0 offset:280 ; 4-byte Folded Spill
	s_nop 0
	buffer_store_dword v6, off, s[52:55], 0 offset:284 ; 4-byte Folded Spill
	v_add_u32_e32 v42, s16, v9
	v_addc_co_u32_e64 v4, s[0:1], v4, v6, s[0:1]
	global_load_dwordx2 v[3:4], v[3:4], off
	s_waitcnt vmcnt(0)
	buffer_store_dword v3, off, s[52:55], 0 offset:24 ; 4-byte Folded Spill
	s_nop 0
	buffer_store_dword v4, off, s[52:55], 0 offset:28 ; 4-byte Folded Spill
	ds_write_b64 v63, v[3:4] offset:256
	s_and_saveexec_b64 s[6:7], vcc
	s_cbranch_execz .LBB1_7
; %bb.6:                                ;   in Loop: Header=BB1_2 Depth=1
	v_mov_b32_e32 v43, v2
	v_lshlrev_b64 v[3:4], 3, v[42:43]
	v_mov_b32_e32 v5, s11
	v_add_co_u32_e64 v3, s[0:1], s10, v3
	v_addc_co_u32_e64 v4, s[0:1], v5, v4, s[0:1]
	global_load_dwordx2 v[3:4], v[3:4], off
	s_waitcnt vmcnt(0)
	buffer_store_dword v3, off, s[52:55], 0 offset:24 ; 4-byte Folded Spill
	s_nop 0
	buffer_store_dword v4, off, s[52:55], 0 offset:28 ; 4-byte Folded Spill
.LBB1_7:                                ;   in Loop: Header=BB1_2 Depth=1
	s_or_b64 exec, exec, s[6:7]
	v_add_u32_e32 v3, s17, v1
	v_mov_b32_e32 v4, v2
	v_lshlrev_b64 v[5:6], 3, v[3:4]
	v_mov_b32_e32 v4, s11
	v_add_co_u32_e64 v3, s[0:1], s10, v5
	buffer_store_dword v5, off, s[52:55], 0 offset:288 ; 4-byte Folded Spill
	s_nop 0
	buffer_store_dword v6, off, s[52:55], 0 offset:292 ; 4-byte Folded Spill
	v_add_u32_e32 v43, s17, v9
	v_addc_co_u32_e64 v4, s[0:1], v4, v6, s[0:1]
	global_load_dwordx2 v[3:4], v[3:4], off
	s_waitcnt vmcnt(0)
	buffer_store_dword v3, off, s[52:55], 0 offset:32 ; 4-byte Folded Spill
	s_nop 0
	buffer_store_dword v4, off, s[52:55], 0 offset:36 ; 4-byte Folded Spill
	ds_write_b64 v63, v[3:4] offset:512
	s_and_saveexec_b64 s[6:7], vcc
	s_cbranch_execz .LBB1_9
; %bb.8:                                ;   in Loop: Header=BB1_2 Depth=1
	v_mov_b32_e32 v44, v2
	v_lshlrev_b64 v[3:4], 3, v[43:44]
	v_mov_b32_e32 v5, s11
	v_add_co_u32_e64 v3, s[0:1], s10, v3
	v_addc_co_u32_e64 v4, s[0:1], v5, v4, s[0:1]
	global_load_dwordx2 v[3:4], v[3:4], off
	s_waitcnt vmcnt(0)
	buffer_store_dword v3, off, s[52:55], 0 offset:32 ; 4-byte Folded Spill
	s_nop 0
	buffer_store_dword v4, off, s[52:55], 0 offset:36 ; 4-byte Folded Spill
.LBB1_9:                                ;   in Loop: Header=BB1_2 Depth=1
	s_or_b64 exec, exec, s[6:7]
	v_add_u32_e32 v3, s18, v1
	v_mov_b32_e32 v4, v2
	v_lshlrev_b64 v[5:6], 3, v[3:4]
	v_mov_b32_e32 v4, s11
	v_add_co_u32_e64 v3, s[0:1], s10, v5
	buffer_store_dword v5, off, s[52:55], 0 offset:296 ; 4-byte Folded Spill
	s_nop 0
	buffer_store_dword v6, off, s[52:55], 0 offset:300 ; 4-byte Folded Spill
	v_addc_co_u32_e64 v4, s[0:1], v4, v6, s[0:1]
	global_load_dwordx2 v[3:4], v[3:4], off
	s_waitcnt vmcnt(0)
	buffer_store_dword v3, off, s[52:55], 0 offset:40 ; 4-byte Folded Spill
	s_nop 0
	buffer_store_dword v4, off, s[52:55], 0 offset:44 ; 4-byte Folded Spill
	ds_write_b64 v63, v[3:4] offset:768
	v_add_u32_e32 v3, s18, v9
	buffer_store_dword v3, off, s[52:55], 0 ; 4-byte Folded Spill
	s_nop 0
	buffer_store_dword v4, off, s[52:55], 0 offset:4 ; 4-byte Folded Spill
	s_and_saveexec_b64 s[6:7], vcc
	s_cbranch_execz .LBB1_11
; %bb.10:                               ;   in Loop: Header=BB1_2 Depth=1
	buffer_load_dword v3, off, s[52:55], 0  ; 4-byte Folded Reload
	buffer_load_dword v4, off, s[52:55], 0 offset:4 ; 4-byte Folded Reload
	s_waitcnt vmcnt(0)
	v_mov_b32_e32 v4, v2
	v_mov_b32_e32 v5, v3
	v_lshlrev_b64 v[3:4], 3, v[3:4]
	buffer_store_dword v5, off, s[52:55], 0 ; 4-byte Folded Spill
	s_nop 0
	buffer_store_dword v6, off, s[52:55], 0 offset:4 ; 4-byte Folded Spill
	v_mov_b32_e32 v5, s11
	v_add_co_u32_e64 v3, s[0:1], s10, v3
	v_addc_co_u32_e64 v4, s[0:1], v5, v4, s[0:1]
	global_load_dwordx2 v[3:4], v[3:4], off
	s_waitcnt vmcnt(0)
	buffer_store_dword v3, off, s[52:55], 0 offset:40 ; 4-byte Folded Spill
	s_nop 0
	buffer_store_dword v4, off, s[52:55], 0 offset:44 ; 4-byte Folded Spill
.LBB1_11:                               ;   in Loop: Header=BB1_2 Depth=1
	s_or_b64 exec, exec, s[6:7]
	v_add_u32_e32 v3, s19, v1
	v_mov_b32_e32 v4, v2
	v_lshlrev_b64 v[5:6], 3, v[3:4]
	v_mov_b32_e32 v4, s11
	v_add_co_u32_e64 v3, s[0:1], s10, v5
	buffer_store_dword v5, off, s[52:55], 0 offset:304 ; 4-byte Folded Spill
	s_nop 0
	buffer_store_dword v6, off, s[52:55], 0 offset:308 ; 4-byte Folded Spill
	v_add_u32_e32 v12, s19, v9
	v_addc_co_u32_e64 v4, s[0:1], v4, v6, s[0:1]
	global_load_dwordx2 v[3:4], v[3:4], off
	s_waitcnt vmcnt(0)
	buffer_store_dword v3, off, s[52:55], 0 offset:48 ; 4-byte Folded Spill
	s_nop 0
	buffer_store_dword v4, off, s[52:55], 0 offset:52 ; 4-byte Folded Spill
	ds_write_b64 v63, v[3:4] offset:1024
	s_and_saveexec_b64 s[6:7], vcc
	s_cbranch_execz .LBB1_13
; %bb.12:                               ;   in Loop: Header=BB1_2 Depth=1
	v_mov_b32_e32 v13, v2
	v_lshlrev_b64 v[3:4], 3, v[12:13]
	v_mov_b32_e32 v5, s11
	v_add_co_u32_e64 v3, s[0:1], s10, v3
	v_addc_co_u32_e64 v4, s[0:1], v5, v4, s[0:1]
	global_load_dwordx2 v[3:4], v[3:4], off
	s_waitcnt vmcnt(0)
	buffer_store_dword v3, off, s[52:55], 0 offset:48 ; 4-byte Folded Spill
	s_nop 0
	buffer_store_dword v4, off, s[52:55], 0 offset:52 ; 4-byte Folded Spill
.LBB1_13:                               ;   in Loop: Header=BB1_2 Depth=1
	s_or_b64 exec, exec, s[6:7]
	v_add_u32_e32 v3, s20, v1
	v_mov_b32_e32 v4, v2
	v_lshlrev_b64 v[5:6], 3, v[3:4]
	v_mov_b32_e32 v4, s11
	v_add_co_u32_e64 v3, s[0:1], s10, v5
	buffer_store_dword v5, off, s[52:55], 0 offset:312 ; 4-byte Folded Spill
	s_nop 0
	buffer_store_dword v6, off, s[52:55], 0 offset:316 ; 4-byte Folded Spill
	v_add_u32_e32 v44, s20, v9
	v_addc_co_u32_e64 v4, s[0:1], v4, v6, s[0:1]
	global_load_dwordx2 v[3:4], v[3:4], off
	s_waitcnt vmcnt(0)
	buffer_store_dword v3, off, s[52:55], 0 offset:56 ; 4-byte Folded Spill
	s_nop 0
	buffer_store_dword v4, off, s[52:55], 0 offset:60 ; 4-byte Folded Spill
	ds_write_b64 v63, v[3:4] offset:1280
	s_and_saveexec_b64 s[6:7], vcc
	s_cbranch_execz .LBB1_15
; %bb.14:                               ;   in Loop: Header=BB1_2 Depth=1
	v_mov_b32_e32 v3, v44
	v_mov_b32_e32 v4, v2
	v_lshlrev_b64 v[3:4], 3, v[3:4]
	v_mov_b32_e32 v5, s11
	v_add_co_u32_e64 v3, s[0:1], s10, v3
	v_addc_co_u32_e64 v4, s[0:1], v5, v4, s[0:1]
	global_load_dwordx2 v[3:4], v[3:4], off
	s_waitcnt vmcnt(0)
	buffer_store_dword v3, off, s[52:55], 0 offset:56 ; 4-byte Folded Spill
	s_nop 0
	buffer_store_dword v4, off, s[52:55], 0 offset:60 ; 4-byte Folded Spill
.LBB1_15:                               ;   in Loop: Header=BB1_2 Depth=1
	s_or_b64 exec, exec, s[6:7]
	v_add_u32_e32 v3, s21, v1
	v_mov_b32_e32 v4, v2
	v_lshlrev_b64 v[5:6], 3, v[3:4]
	v_mov_b32_e32 v4, s11
	v_add_co_u32_e64 v3, s[0:1], s10, v5
	buffer_store_dword v5, off, s[52:55], 0 offset:320 ; 4-byte Folded Spill
	s_nop 0
	buffer_store_dword v6, off, s[52:55], 0 offset:324 ; 4-byte Folded Spill
	v_add_u32_e32 v13, s21, v9
	v_addc_co_u32_e64 v4, s[0:1], v4, v6, s[0:1]
	global_load_dwordx2 v[3:4], v[3:4], off
	s_waitcnt vmcnt(0)
	buffer_store_dword v3, off, s[52:55], 0 offset:64 ; 4-byte Folded Spill
	s_nop 0
	buffer_store_dword v4, off, s[52:55], 0 offset:68 ; 4-byte Folded Spill
	ds_write_b64 v63, v[3:4] offset:1536
	s_and_saveexec_b64 s[6:7], vcc
	s_cbranch_execz .LBB1_17
; %bb.16:                               ;   in Loop: Header=BB1_2 Depth=1
	v_mov_b32_e32 v14, v2
	v_lshlrev_b64 v[3:4], 3, v[13:14]
	v_mov_b32_e32 v5, s11
	v_add_co_u32_e64 v3, s[0:1], s10, v3
	v_addc_co_u32_e64 v4, s[0:1], v5, v4, s[0:1]
	global_load_dwordx2 v[3:4], v[3:4], off
	s_waitcnt vmcnt(0)
	buffer_store_dword v3, off, s[52:55], 0 offset:64 ; 4-byte Folded Spill
	s_nop 0
	buffer_store_dword v4, off, s[52:55], 0 offset:68 ; 4-byte Folded Spill
.LBB1_17:                               ;   in Loop: Header=BB1_2 Depth=1
	s_or_b64 exec, exec, s[6:7]
	v_add_u32_e32 v3, s22, v1
	v_mov_b32_e32 v4, v2
	v_lshlrev_b64 v[5:6], 3, v[3:4]
	v_mov_b32_e32 v4, s11
	v_add_co_u32_e64 v3, s[0:1], s10, v5
	buffer_store_dword v5, off, s[52:55], 0 offset:328 ; 4-byte Folded Spill
	s_nop 0
	buffer_store_dword v6, off, s[52:55], 0 offset:332 ; 4-byte Folded Spill
	v_add_u32_e32 v51, s22, v9
	v_addc_co_u32_e64 v4, s[0:1], v4, v6, s[0:1]
	global_load_dwordx2 v[3:4], v[3:4], off
	s_waitcnt vmcnt(0)
	buffer_store_dword v3, off, s[52:55], 0 offset:72 ; 4-byte Folded Spill
	s_nop 0
	buffer_store_dword v4, off, s[52:55], 0 offset:76 ; 4-byte Folded Spill
	ds_write_b64 v63, v[3:4] offset:1792
	s_and_saveexec_b64 s[6:7], vcc
	s_cbranch_execz .LBB1_19
; %bb.18:                               ;   in Loop: Header=BB1_2 Depth=1
	v_mov_b32_e32 v52, v2
	v_lshlrev_b64 v[3:4], 3, v[51:52]
	v_mov_b32_e32 v5, s11
	v_add_co_u32_e64 v3, s[0:1], s10, v3
	v_addc_co_u32_e64 v4, s[0:1], v5, v4, s[0:1]
	global_load_dwordx2 v[3:4], v[3:4], off
	s_waitcnt vmcnt(0)
	buffer_store_dword v3, off, s[52:55], 0 offset:72 ; 4-byte Folded Spill
	s_nop 0
	buffer_store_dword v4, off, s[52:55], 0 offset:76 ; 4-byte Folded Spill
.LBB1_19:                               ;   in Loop: Header=BB1_2 Depth=1
	;; [unrolled: 31-line block ×17, first 2 shown]
	s_or_b64 exec, exec, s[6:7]
	v_add_u32_e32 v3, s39, v1
	v_mov_b32_e32 v4, v2
	v_lshlrev_b64 v[6:7], 3, v[3:4]
	v_mov_b32_e32 v4, s11
	v_add_co_u32_e64 v3, s[0:1], s10, v6
	buffer_store_dword v6, off, s[52:55], 0 offset:456 ; 4-byte Folded Spill
	s_nop 0
	buffer_store_dword v7, off, s[52:55], 0 offset:460 ; 4-byte Folded Spill
	v_addc_co_u32_e64 v4, s[0:1], v4, v7, s[0:1]
	global_load_dwordx2 v[3:4], v[3:4], off
	v_add_u32_e32 v7, s39, v9
	s_waitcnt vmcnt(0)
	buffer_store_dword v3, off, s[52:55], 0 offset:200 ; 4-byte Folded Spill
	s_nop 0
	buffer_store_dword v4, off, s[52:55], 0 offset:204 ; 4-byte Folded Spill
	ds_write_b64 v63, v[3:4] offset:5888
	s_and_saveexec_b64 s[6:7], vcc
	s_cbranch_execz .LBB1_51
; %bb.50:                               ;   in Loop: Header=BB1_2 Depth=1
	v_mov_b32_e32 v8, v2
	v_lshlrev_b64 v[3:4], 3, v[7:8]
	v_mov_b32_e32 v6, s11
	v_add_co_u32_e64 v3, s[0:1], s10, v3
	v_addc_co_u32_e64 v4, s[0:1], v6, v4, s[0:1]
	global_load_dwordx2 v[3:4], v[3:4], off
	s_waitcnt vmcnt(0)
	buffer_store_dword v3, off, s[52:55], 0 offset:200 ; 4-byte Folded Spill
	s_nop 0
	buffer_store_dword v4, off, s[52:55], 0 offset:204 ; 4-byte Folded Spill
.LBB1_51:                               ;   in Loop: Header=BB1_2 Depth=1
	s_or_b64 exec, exec, s[6:7]
	v_add_u32_e32 v3, s40, v1
	v_mov_b32_e32 v4, v2
	v_lshlrev_b64 v[20:21], 3, v[3:4]
	v_mov_b32_e32 v4, s11
	v_add_co_u32_e64 v3, s[0:1], s10, v20
	buffer_store_dword v20, off, s[52:55], 0 offset:464 ; 4-byte Folded Spill
	s_nop 0
	buffer_store_dword v21, off, s[52:55], 0 offset:468 ; 4-byte Folded Spill
	v_add_u32_e32 v47, s40, v9
	v_addc_co_u32_e64 v4, s[0:1], v4, v21, s[0:1]
	global_load_dwordx2 v[3:4], v[3:4], off
	s_waitcnt vmcnt(0)
	buffer_store_dword v3, off, s[52:55], 0 offset:208 ; 4-byte Folded Spill
	s_nop 0
	buffer_store_dword v4, off, s[52:55], 0 offset:212 ; 4-byte Folded Spill
	ds_write_b64 v63, v[3:4] offset:6144
	s_and_saveexec_b64 s[6:7], vcc
	s_cbranch_execz .LBB1_53
; %bb.52:                               ;   in Loop: Header=BB1_2 Depth=1
	v_mov_b32_e32 v48, v2
	v_lshlrev_b64 v[3:4], 3, v[47:48]
	v_mov_b32_e32 v6, s11
	v_add_co_u32_e64 v3, s[0:1], s10, v3
	v_addc_co_u32_e64 v4, s[0:1], v6, v4, s[0:1]
	global_load_dwordx2 v[3:4], v[3:4], off
	s_waitcnt vmcnt(0)
	buffer_store_dword v3, off, s[52:55], 0 offset:208 ; 4-byte Folded Spill
	s_nop 0
	buffer_store_dword v4, off, s[52:55], 0 offset:212 ; 4-byte Folded Spill
.LBB1_53:                               ;   in Loop: Header=BB1_2 Depth=1
	s_or_b64 exec, exec, s[6:7]
	v_add_u32_e32 v3, s41, v1
	v_mov_b32_e32 v4, v2
	v_lshlrev_b64 v[20:21], 3, v[3:4]
	v_mov_b32_e32 v4, s11
	v_add_co_u32_e64 v3, s[0:1], s10, v20
	buffer_store_dword v20, off, s[52:55], 0 offset:480 ; 4-byte Folded Spill
	s_nop 0
	buffer_store_dword v21, off, s[52:55], 0 offset:484 ; 4-byte Folded Spill
	v_add_u32_e32 v49, s41, v9
	v_addc_co_u32_e64 v4, s[0:1], v4, v21, s[0:1]
	global_load_dwordx2 v[3:4], v[3:4], off
	;; [unrolled: 31-line block ×4, first 2 shown]
	s_waitcnt vmcnt(0)
	buffer_store_dword v3, off, s[52:55], 0 offset:232 ; 4-byte Folded Spill
	s_nop 0
	buffer_store_dword v4, off, s[52:55], 0 offset:236 ; 4-byte Folded Spill
	ds_write_b64 v63, v[3:4] offset:6912
	s_and_saveexec_b64 s[6:7], vcc
	s_cbranch_execz .LBB1_59
; %bb.58:                               ;   in Loop: Header=BB1_2 Depth=1
	v_mov_b32_e32 v28, v2
	v_lshlrev_b64 v[3:4], 3, v[27:28]
	v_mov_b32_e32 v6, s11
	v_add_co_u32_e64 v3, s[0:1], s10, v3
	v_addc_co_u32_e64 v4, s[0:1], v6, v4, s[0:1]
	global_load_dwordx2 v[3:4], v[3:4], off
	s_waitcnt vmcnt(0)
	buffer_store_dword v3, off, s[52:55], 0 offset:232 ; 4-byte Folded Spill
	s_nop 0
	buffer_store_dword v4, off, s[52:55], 0 offset:236 ; 4-byte Folded Spill
.LBB1_59:                               ;   in Loop: Header=BB1_2 Depth=1
	s_or_b64 exec, exec, s[6:7]
	v_add_u32_e32 v3, s44, v1
	v_mov_b32_e32 v4, v2
	v_lshlrev_b64 v[20:21], 3, v[3:4]
	v_mov_b32_e32 v4, s11
	v_add_co_u32_e64 v3, s[0:1], s10, v20
	buffer_store_dword v20, off, s[52:55], 0 offset:496 ; 4-byte Folded Spill
	s_nop 0
	buffer_store_dword v21, off, s[52:55], 0 offset:500 ; 4-byte Folded Spill
	v_addc_co_u32_e64 v4, s[0:1], v4, v21, s[0:1]
	global_load_dwordx2 v[3:4], v[3:4], off
	v_add_u32_e32 v21, s44, v9
	s_waitcnt vmcnt(0)
	buffer_store_dword v3, off, s[52:55], 0 offset:240 ; 4-byte Folded Spill
	s_nop 0
	buffer_store_dword v4, off, s[52:55], 0 offset:244 ; 4-byte Folded Spill
	ds_write_b64 v63, v[3:4] offset:7168
	s_and_saveexec_b64 s[6:7], vcc
	s_cbranch_execz .LBB1_61
; %bb.60:                               ;   in Loop: Header=BB1_2 Depth=1
	v_mov_b32_e32 v22, v2
	v_lshlrev_b64 v[3:4], 3, v[21:22]
	v_mov_b32_e32 v6, s11
	v_add_co_u32_e64 v3, s[0:1], s10, v3
	v_addc_co_u32_e64 v4, s[0:1], v6, v4, s[0:1]
	global_load_dwordx2 v[3:4], v[3:4], off
	s_waitcnt vmcnt(0)
	buffer_store_dword v3, off, s[52:55], 0 offset:240 ; 4-byte Folded Spill
	s_nop 0
	buffer_store_dword v4, off, s[52:55], 0 offset:244 ; 4-byte Folded Spill
.LBB1_61:                               ;   in Loop: Header=BB1_2 Depth=1
	s_or_b64 exec, exec, s[6:7]
	v_add_u32_e32 v3, s45, v1
	v_mov_b32_e32 v4, v2
	v_lshlrev_b64 v[24:25], 3, v[3:4]
	v_mov_b32_e32 v4, s11
	v_add_co_u32_e64 v3, s[0:1], s10, v24
	buffer_store_dword v24, off, s[52:55], 0 offset:512 ; 4-byte Folded Spill
	s_nop 0
	buffer_store_dword v25, off, s[52:55], 0 offset:516 ; 4-byte Folded Spill
	v_addc_co_u32_e64 v4, s[0:1], v4, v25, s[0:1]
	global_load_dwordx2 v[3:4], v[3:4], off
	v_add_u32_e32 v25, s45, v9
	s_waitcnt vmcnt(0)
	buffer_store_dword v3, off, s[52:55], 0 offset:248 ; 4-byte Folded Spill
	s_nop 0
	buffer_store_dword v4, off, s[52:55], 0 offset:252 ; 4-byte Folded Spill
	ds_write_b64 v63, v[3:4] offset:7424
	s_and_saveexec_b64 s[6:7], vcc
	s_cbranch_execz .LBB1_63
; %bb.62:                               ;   in Loop: Header=BB1_2 Depth=1
	v_mov_b32_e32 v26, v2
	v_lshlrev_b64 v[3:4], 3, v[25:26]
	v_mov_b32_e32 v6, s11
	v_add_co_u32_e64 v3, s[0:1], s10, v3
	v_addc_co_u32_e64 v4, s[0:1], v6, v4, s[0:1]
	global_load_dwordx2 v[3:4], v[3:4], off
	s_waitcnt vmcnt(0)
	buffer_store_dword v3, off, s[52:55], 0 offset:248 ; 4-byte Folded Spill
	s_nop 0
	buffer_store_dword v4, off, s[52:55], 0 offset:252 ; 4-byte Folded Spill
.LBB1_63:                               ;   in Loop: Header=BB1_2 Depth=1
	s_or_b64 exec, exec, s[6:7]
	v_add_u32_e32 v3, s46, v1
	v_mov_b32_e32 v4, v2
	v_lshlrev_b64 v[34:35], 3, v[3:4]
	v_mov_b32_e32 v4, s11
	v_add_co_u32_e64 v3, s[0:1], s10, v34
	buffer_store_dword v34, off, s[52:55], 0 offset:504 ; 4-byte Folded Spill
	s_nop 0
	buffer_store_dword v35, off, s[52:55], 0 offset:508 ; 4-byte Folded Spill
	v_addc_co_u32_e64 v4, s[0:1], v4, v35, s[0:1]
	global_load_dwordx2 v[3:4], v[3:4], off
	s_waitcnt vmcnt(0)
	buffer_store_dword v3, off, s[52:55], 0 offset:256 ; 4-byte Folded Spill
	s_nop 0
	buffer_store_dword v4, off, s[52:55], 0 offset:260 ; 4-byte Folded Spill
	ds_write_b64 v63, v[3:4] offset:7680
	v_add_u32_e32 v3, s46, v9
	s_and_saveexec_b64 s[6:7], vcc
	s_cbranch_execz .LBB1_65
; %bb.64:                               ;   in Loop: Header=BB1_2 Depth=1
	v_mov_b32_e32 v4, v2
	v_lshlrev_b64 v[40:41], 3, v[3:4]
	v_mov_b32_e32 v4, s11
	v_add_co_u32_e64 v40, s[0:1], s10, v40
	v_addc_co_u32_e64 v41, s[0:1], v4, v41, s[0:1]
	global_load_dwordx2 v[34:35], v[40:41], off
	s_waitcnt vmcnt(0)
	buffer_store_dword v34, off, s[52:55], 0 offset:256 ; 4-byte Folded Spill
	s_nop 0
	buffer_store_dword v35, off, s[52:55], 0 offset:260 ; 4-byte Folded Spill
.LBB1_65:                               ;   in Loop: Header=BB1_2 Depth=1
	s_or_b64 exec, exec, s[6:7]
	v_add_u32_e32 v1, s47, v1
	v_lshlrev_b64 v[34:35], 3, v[1:2]
	v_mov_b32_e32 v1, s11
	v_add_co_u32_e64 v40, s[0:1], s10, v34
	buffer_store_dword v34, off, s[52:55], 0 offset:520 ; 4-byte Folded Spill
	s_nop 0
	buffer_store_dword v35, off, s[52:55], 0 offset:524 ; 4-byte Folded Spill
	v_mov_b32_e32 v4, v43
	v_addc_co_u32_e64 v41, s[0:1], v1, v35, s[0:1]
	global_load_dwordx2 v[34:35], v[40:41], off
	v_add_u32_e32 v1, s47, v9
	v_lshlrev_b64 v[40:41], 3, v[1:2]
	buffer_store_dword v40, off, s[52:55], 0 offset:8 ; 4-byte Folded Spill
	s_nop 0
	buffer_store_dword v41, off, s[52:55], 0 offset:12 ; 4-byte Folded Spill
	s_waitcnt vmcnt(2)
	buffer_store_dword v34, off, s[52:55], 0 offset:264 ; 4-byte Folded Spill
	s_nop 0
	buffer_store_dword v35, off, s[52:55], 0 offset:268 ; 4-byte Folded Spill
	ds_write_b64 v63, v[34:35] offset:7936
	s_and_saveexec_b64 s[6:7], vcc
	s_cbranch_execz .LBB1_67
; %bb.66:                               ;   in Loop: Header=BB1_2 Depth=1
	buffer_load_dword v34, off, s[52:55], 0 offset:8 ; 4-byte Folded Reload
	buffer_load_dword v35, off, s[52:55], 0 offset:12 ; 4-byte Folded Reload
	v_mov_b32_e32 v1, s11
	s_waitcnt vmcnt(1)
	v_add_co_u32_e64 v40, s[0:1], s10, v34
	s_waitcnt vmcnt(0)
	v_addc_co_u32_e64 v41, s[0:1], v1, v35, s[0:1]
	global_load_dwordx2 v[34:35], v[40:41], off
	s_waitcnt vmcnt(0)
	buffer_store_dword v34, off, s[52:55], 0 offset:264 ; 4-byte Folded Spill
	s_nop 0
	buffer_store_dword v35, off, s[52:55], 0 offset:268 ; 4-byte Folded Spill
.LBB1_67:                               ;   in Loop: Header=BB1_2 Depth=1
	s_or_b64 exec, exec, s[6:7]
	v_mov_b32_e32 v10, v2
	v_lshlrev_b64 v[8:9], 3, v[9:10]
	v_mov_b32_e32 v43, v2
	v_mov_b32_e32 v1, s9
	v_add_co_u32_e64 v8, s[0:1], s8, v8
	v_lshlrev_b64 v[40:41], 3, v[42:43]
	v_addc_co_u32_e64 v9, s[0:1], v1, v9, s[0:1]
	v_add_co_u32_e64 v34, s[0:1], s8, v40
	v_addc_co_u32_e64 v35, s[0:1], v1, v41, s[0:1]
	ds_read2_b64 v[40:43], v11 offset1:1
	s_waitcnt lgkmcnt(0)
	global_store_dwordx2 v[8:9], v[40:41], off
	global_store_dwordx2 v[34:35], v[42:43], off
	buffer_load_dword v34, off, s[52:55], 0 ; 4-byte Folded Reload
	s_nop 0
	buffer_load_dword v35, off, s[52:55], 0 offset:4 ; 4-byte Folded Reload
	v_mov_b32_e32 v8, v4
	v_mov_b32_e32 v9, v2
	v_lshlrev_b64 v[8:9], 3, v[8:9]
	ds_read2_b64 v[40:43], v11 offset0:2 offset1:3
	s_waitcnt vmcnt(0)
	v_mov_b32_e32 v35, v2
	v_add_co_u32_e64 v8, s[0:1], s8, v8
	v_addc_co_u32_e64 v9, s[0:1], v1, v9, s[0:1]
	v_mov_b32_e32 v14, v2
	v_mov_b32_e32 v52, v2
	;; [unrolled: 1-line block ×7, first 2 shown]
	v_lshlrev_b64 v[4:5], 3, v[5:6]
	v_mov_b32_e32 v16, v2
	v_mov_b32_e32 v20, v2
	;; [unrolled: 1-line block ×14, first 2 shown]
	v_lshlrev_b64 v[34:35], 3, v[34:35]
	v_add_co_u32_e64 v34, s[0:1], s8, v34
	v_addc_co_u32_e64 v35, s[0:1], v1, v35, s[0:1]
	s_waitcnt lgkmcnt(0)
	global_store_dwordx2 v[8:9], v[40:41], off
	global_store_dwordx2 v[34:35], v[42:43], off
	v_mov_b32_e32 v8, v12
	v_mov_b32_e32 v9, v2
	v_lshlrev_b64 v[8:9], 3, v[8:9]
	ds_read2_b64 v[40:43], v11 offset0:4 offset1:5
	v_mov_b32_e32 v34, v44
	v_mov_b32_e32 v35, v2
	v_add_co_u32_e64 v8, s[0:1], s8, v8
	v_lshlrev_b64 v[34:35], 3, v[34:35]
	v_addc_co_u32_e64 v9, s[0:1], v1, v9, s[0:1]
	v_add_co_u32_e64 v34, s[0:1], s8, v34
	v_addc_co_u32_e64 v35, s[0:1], v1, v35, s[0:1]
	s_waitcnt lgkmcnt(0)
	global_store_dwordx2 v[8:9], v[40:41], off
	global_store_dwordx2 v[34:35], v[42:43], off
	v_lshlrev_b64 v[8:9], 3, v[13:14]
	ds_read2_b64 v[40:43], v11 offset0:6 offset1:7
	v_add_co_u32_e64 v8, s[0:1], s8, v8
	v_lshlrev_b64 v[12:13], 3, v[51:52]
	v_addc_co_u32_e64 v9, s[0:1], v1, v9, s[0:1]
	v_add_co_u32_e64 v12, s[0:1], s8, v12
	v_addc_co_u32_e64 v13, s[0:1], v1, v13, s[0:1]
	s_waitcnt lgkmcnt(0)
	global_store_dwordx2 v[8:9], v[40:41], off
	global_store_dwordx2 v[12:13], v[42:43], off
	v_lshlrev_b64 v[8:9], 3, v[31:32]
	ds_read2_b64 v[40:43], v11 offset0:8 offset1:9
	v_add_co_u32_e64 v8, s[0:1], s8, v8
	v_lshlrev_b64 v[12:13], 3, v[17:18]
	v_addc_co_u32_e64 v9, s[0:1], v1, v9, s[0:1]
	v_add_co_u32_e64 v12, s[0:1], s8, v12
	v_addc_co_u32_e64 v13, s[0:1], v1, v13, s[0:1]
	s_waitcnt lgkmcnt(0)
	global_store_dwordx2 v[8:9], v[40:41], off
	global_store_dwordx2 v[12:13], v[42:43], off
	ds_read2_b64 v[40:43], v11 offset0:10 offset1:11
	v_lshlrev_b64 v[8:9], 3, v[59:60]
	v_mov_b32_e32 v34, v2
	v_add_co_u32_e64 v8, s[0:1], s8, v8
	v_addc_co_u32_e64 v9, s[0:1], v1, v9, s[0:1]
	s_waitcnt lgkmcnt(0)
	global_store_dwordx2 v[8:9], v[40:41], off
	v_lshlrev_b64 v[8:9], 3, v[53:54]
	v_add_co_u32_e64 v8, s[0:1], s8, v8
	v_addc_co_u32_e64 v9, s[0:1], v1, v9, s[0:1]
	global_store_dwordx2 v[8:9], v[42:43], off
	ds_read2_b64 v[40:43], v11 offset0:12 offset1:13
	v_add_co_u32_e64 v4, s[0:1], s8, v4
	v_addc_co_u32_e64 v5, s[0:1], v1, v5, s[0:1]
	s_waitcnt lgkmcnt(0)
	global_store_dwordx2 v[4:5], v[40:41], off
	v_lshlrev_b64 v[4:5], 3, v[15:16]
	ds_read2_b64 v[12:15], v11 offset0:14 offset1:15
	v_add_co_u32_e64 v4, s[0:1], s8, v4
	v_addc_co_u32_e64 v5, s[0:1], v1, v5, s[0:1]
	global_store_dwordx2 v[4:5], v[42:43], off
	v_lshlrev_b64 v[4:5], 3, v[19:20]
	v_mov_b32_e32 v40, v2
	v_add_co_u32_e64 v4, s[0:1], s8, v4
	v_addc_co_u32_e64 v5, s[0:1], v1, v5, s[0:1]
	s_waitcnt lgkmcnt(0)
	global_store_dwordx2 v[4:5], v[12:13], off
	v_lshlrev_b64 v[4:5], 3, v[33:34]
	v_mov_b32_e32 v8, v2
	v_add_co_u32_e64 v4, s[0:1], s8, v4
	v_addc_co_u32_e64 v5, s[0:1], v1, v5, s[0:1]
	global_store_dwordx2 v[4:5], v[14:15], off
	ds_read2_b64 v[12:15], v11 offset0:16 offset1:17
	v_lshlrev_b64 v[4:5], 3, v[39:40]
	v_add_co_u32_e64 v4, s[0:1], s8, v4
	v_addc_co_u32_e64 v5, s[0:1], v1, v5, s[0:1]
	s_waitcnt lgkmcnt(0)
	global_store_dwordx2 v[4:5], v[12:13], off
	v_lshlrev_b64 v[4:5], 3, v[57:58]
	v_add_co_u32_e64 v4, s[0:1], s8, v4
	v_addc_co_u32_e64 v5, s[0:1], v1, v5, s[0:1]
	global_store_dwordx2 v[4:5], v[14:15], off
	ds_read2_b64 v[12:15], v11 offset0:18 offset1:19
	v_lshlrev_b64 v[4:5], 3, v[23:24]
	v_add_co_u32_e64 v4, s[0:1], s8, v4
	v_addc_co_u32_e64 v5, s[0:1], v1, v5, s[0:1]
	s_waitcnt lgkmcnt(0)
	global_store_dwordx2 v[4:5], v[12:13], off
	v_lshlrev_b64 v[4:5], 3, v[29:30]
	;; [unrolled: 10-line block ×4, first 2 shown]
	v_lshlrev_b64 v[8:9], 3, v[47:48]
	v_add_co_u32_e64 v4, s[0:1], s8, v4
	v_addc_co_u32_e64 v5, s[0:1], v1, v5, s[0:1]
	global_store_dwordx2 v[4:5], v[14:15], off
	ds_read2_b64 v[4:7], v11 offset0:24 offset1:25
	v_add_co_u32_e64 v8, s[0:1], s8, v8
	v_addc_co_u32_e64 v9, s[0:1], v1, v9, s[0:1]
	s_waitcnt lgkmcnt(0)
	global_store_dwordx2 v[8:9], v[4:5], off
	v_lshlrev_b64 v[4:5], 3, v[49:50]
	v_lshlrev_b64 v[8:9], 3, v[55:56]
	v_add_co_u32_e64 v4, s[0:1], s8, v4
	v_addc_co_u32_e64 v5, s[0:1], v1, v5, s[0:1]
	global_store_dwordx2 v[4:5], v[6:7], off
	ds_read2_b64 v[4:7], v11 offset0:26 offset1:27
	v_add_co_u32_e64 v8, s[0:1], s8, v8
	v_addc_co_u32_e64 v9, s[0:1], v1, v9, s[0:1]
	s_waitcnt lgkmcnt(0)
	global_store_dwordx2 v[8:9], v[4:5], off
	v_lshlrev_b64 v[4:5], 3, v[27:28]
	;; [unrolled: 10-line block ×3, first 2 shown]
	v_add_co_u32_e64 v4, s[0:1], s8, v4
	v_addc_co_u32_e64 v5, s[0:1], v1, v5, s[0:1]
	global_store_dwordx2 v[4:5], v[6:7], off
	ds_read2_b64 v[5:8], v11 offset0:30 offset1:31
	v_mov_b32_e32 v4, v2
	v_lshlrev_b64 v[3:4], 3, v[3:4]
	v_add_co_u32_e64 v3, s[0:1], s8, v3
	v_addc_co_u32_e64 v4, s[0:1], v1, v4, s[0:1]
	s_waitcnt lgkmcnt(0)
	global_store_dwordx2 v[3:4], v[5:6], off
	buffer_load_dword v3, off, s[52:55], 0 offset:8 ; 4-byte Folded Reload
	s_nop 0
	buffer_load_dword v4, off, s[52:55], 0 offset:12 ; 4-byte Folded Reload
	s_waitcnt vmcnt(1)
	v_add_co_u32_e64 v3, s[0:1], s8, v3
	s_waitcnt vmcnt(0)
	v_addc_co_u32_e64 v4, s[0:1], v1, v4, s[0:1]
	global_store_dwordx2 v[3:4], v[7:8], off
	s_and_b64 exec, exec, vcc
	s_cbranch_execz .LBB1_1
; %bb.68:                               ;   in Loop: Header=BB1_2 Depth=1
	buffer_load_dword v3, off, s[52:55], 0 offset:16 ; 4-byte Folded Reload
	buffer_load_dword v4, off, s[52:55], 0 offset:20 ; 4-byte Folded Reload
	;; [unrolled: 1-line block ×4, first 2 shown]
	v_add_u32_e32 v1, 0x800, v63
	s_waitcnt vmcnt(0)
	ds_write2_b64 v63, v[3:4], v[5:6] offset1:32
	buffer_load_dword v3, off, s[52:55], 0 offset:32 ; 4-byte Folded Reload
	buffer_load_dword v4, off, s[52:55], 0 offset:36 ; 4-byte Folded Reload
	buffer_load_dword v5, off, s[52:55], 0 offset:40 ; 4-byte Folded Reload
	buffer_load_dword v6, off, s[52:55], 0 offset:44 ; 4-byte Folded Reload
	s_waitcnt vmcnt(0)
	ds_write2_b64 v63, v[3:4], v[5:6] offset0:64 offset1:96
	buffer_load_dword v3, off, s[52:55], 0 offset:48 ; 4-byte Folded Reload
	buffer_load_dword v4, off, s[52:55], 0 offset:52 ; 4-byte Folded Reload
	buffer_load_dword v5, off, s[52:55], 0 offset:56 ; 4-byte Folded Reload
	buffer_load_dword v6, off, s[52:55], 0 offset:60 ; 4-byte Folded Reload
	s_waitcnt vmcnt(0)
	ds_write2_b64 v63, v[3:4], v[5:6] offset0:128 offset1:160
	;; [unrolled: 6-line block ×3, first 2 shown]
	buffer_load_dword v3, off, s[52:55], 0 offset:80 ; 4-byte Folded Reload
	buffer_load_dword v4, off, s[52:55], 0 offset:84 ; 4-byte Folded Reload
	buffer_load_dword v5, off, s[52:55], 0 offset:88 ; 4-byte Folded Reload
	buffer_load_dword v6, off, s[52:55], 0 offset:92 ; 4-byte Folded Reload
	s_waitcnt vmcnt(0)
	ds_write2_b64 v1, v[3:4], v[5:6] offset1:32
	buffer_load_dword v3, off, s[52:55], 0 offset:96 ; 4-byte Folded Reload
	buffer_load_dword v4, off, s[52:55], 0 offset:100 ; 4-byte Folded Reload
	buffer_load_dword v5, off, s[52:55], 0 offset:104 ; 4-byte Folded Reload
	buffer_load_dword v6, off, s[52:55], 0 offset:108 ; 4-byte Folded Reload
	s_waitcnt vmcnt(0)
	ds_write2_b64 v1, v[3:4], v[5:6] offset0:64 offset1:96
	buffer_load_dword v3, off, s[52:55], 0 offset:112 ; 4-byte Folded Reload
	buffer_load_dword v4, off, s[52:55], 0 offset:116 ; 4-byte Folded Reload
	buffer_load_dword v5, off, s[52:55], 0 offset:120 ; 4-byte Folded Reload
	buffer_load_dword v6, off, s[52:55], 0 offset:124 ; 4-byte Folded Reload
	s_waitcnt vmcnt(0)
	ds_write2_b64 v1, v[3:4], v[5:6] offset0:128 offset1:160
	;; [unrolled: 6-line block ×3, first 2 shown]
	buffer_load_dword v3, off, s[52:55], 0 offset:144 ; 4-byte Folded Reload
	buffer_load_dword v4, off, s[52:55], 0 offset:148 ; 4-byte Folded Reload
	;; [unrolled: 1-line block ×4, first 2 shown]
	v_add_u32_e32 v1, 0x1000, v63
	s_waitcnt vmcnt(0)
	ds_write2_b64 v1, v[3:4], v[5:6] offset1:32
	buffer_load_dword v3, off, s[52:55], 0 offset:160 ; 4-byte Folded Reload
	buffer_load_dword v4, off, s[52:55], 0 offset:164 ; 4-byte Folded Reload
	buffer_load_dword v5, off, s[52:55], 0 offset:168 ; 4-byte Folded Reload
	buffer_load_dword v6, off, s[52:55], 0 offset:172 ; 4-byte Folded Reload
	s_waitcnt vmcnt(0)
	ds_write2_b64 v1, v[3:4], v[5:6] offset0:64 offset1:96
	buffer_load_dword v3, off, s[52:55], 0 offset:176 ; 4-byte Folded Reload
	buffer_load_dword v4, off, s[52:55], 0 offset:180 ; 4-byte Folded Reload
	buffer_load_dword v5, off, s[52:55], 0 offset:184 ; 4-byte Folded Reload
	buffer_load_dword v6, off, s[52:55], 0 offset:188 ; 4-byte Folded Reload
	s_waitcnt vmcnt(0)
	ds_write2_b64 v1, v[3:4], v[5:6] offset0:128 offset1:160
	;; [unrolled: 6-line block ×3, first 2 shown]
	buffer_load_dword v3, off, s[52:55], 0 offset:208 ; 4-byte Folded Reload
	buffer_load_dword v4, off, s[52:55], 0 offset:212 ; 4-byte Folded Reload
	;; [unrolled: 1-line block ×4, first 2 shown]
	v_add_u32_e32 v1, 0x1800, v63
	s_waitcnt vmcnt(0)
	ds_write2_b64 v1, v[3:4], v[5:6] offset1:32
	buffer_load_dword v3, off, s[52:55], 0 offset:224 ; 4-byte Folded Reload
	buffer_load_dword v4, off, s[52:55], 0 offset:228 ; 4-byte Folded Reload
	buffer_load_dword v5, off, s[52:55], 0 offset:232 ; 4-byte Folded Reload
	buffer_load_dword v6, off, s[52:55], 0 offset:236 ; 4-byte Folded Reload
	s_waitcnt vmcnt(0)
	ds_write2_b64 v1, v[3:4], v[5:6] offset0:64 offset1:96
	buffer_load_dword v3, off, s[52:55], 0 offset:240 ; 4-byte Folded Reload
	buffer_load_dword v4, off, s[52:55], 0 offset:244 ; 4-byte Folded Reload
	buffer_load_dword v5, off, s[52:55], 0 offset:248 ; 4-byte Folded Reload
	buffer_load_dword v6, off, s[52:55], 0 offset:252 ; 4-byte Folded Reload
	s_waitcnt vmcnt(0)
	ds_write2_b64 v1, v[3:4], v[5:6] offset0:128 offset1:160
	buffer_load_dword v3, off, s[52:55], 0 offset:256 ; 4-byte Folded Reload
	buffer_load_dword v4, off, s[52:55], 0 offset:260 ; 4-byte Folded Reload
	buffer_load_dword v5, off, s[52:55], 0 offset:264 ; 4-byte Folded Reload
	buffer_load_dword v6, off, s[52:55], 0 offset:268 ; 4-byte Folded Reload
	s_waitcnt vmcnt(0)
	ds_write2_b64 v1, v[3:4], v[5:6] offset0:192 offset1:224
	ds_read2_b64 v[3:6], v11 offset1:1
	buffer_load_dword v7, off, s[52:55], 0 offset:272 ; 4-byte Folded Reload
	buffer_load_dword v8, off, s[52:55], 0 offset:276 ; 4-byte Folded Reload
	v_mov_b32_e32 v1, s9
	s_waitcnt vmcnt(1)
	v_add_co_u32_e32 v7, vcc, s8, v7
	s_waitcnt vmcnt(0)
	v_addc_co_u32_e32 v8, vcc, v1, v8, vcc
	s_waitcnt lgkmcnt(0)
	global_store_dwordx2 v[7:8], v[3:4], off
	buffer_load_dword v3, off, s[52:55], 0 offset:280 ; 4-byte Folded Reload
	s_nop 0
	buffer_load_dword v4, off, s[52:55], 0 offset:284 ; 4-byte Folded Reload
	s_waitcnt vmcnt(1)
	v_add_co_u32_e32 v3, vcc, s8, v3
	s_waitcnt vmcnt(0)
	v_addc_co_u32_e32 v4, vcc, v1, v4, vcc
	global_store_dwordx2 v[3:4], v[5:6], off
	ds_read2_b64 v[3:6], v11 offset0:2 offset1:3
	buffer_load_dword v7, off, s[52:55], 0 offset:288 ; 4-byte Folded Reload
	buffer_load_dword v8, off, s[52:55], 0 offset:292 ; 4-byte Folded Reload
	s_waitcnt vmcnt(1)
	v_add_co_u32_e32 v7, vcc, s8, v7
	s_waitcnt vmcnt(0)
	v_addc_co_u32_e32 v8, vcc, v1, v8, vcc
	s_waitcnt lgkmcnt(0)
	global_store_dwordx2 v[7:8], v[3:4], off
	buffer_load_dword v3, off, s[52:55], 0 offset:296 ; 4-byte Folded Reload
	s_nop 0
	buffer_load_dword v4, off, s[52:55], 0 offset:300 ; 4-byte Folded Reload
	s_waitcnt vmcnt(1)
	v_add_co_u32_e32 v3, vcc, s8, v3
	s_waitcnt vmcnt(0)
	v_addc_co_u32_e32 v4, vcc, v1, v4, vcc
	global_store_dwordx2 v[3:4], v[5:6], off
	ds_read2_b64 v[3:6], v11 offset0:4 offset1:5
	buffer_load_dword v7, off, s[52:55], 0 offset:304 ; 4-byte Folded Reload
	buffer_load_dword v8, off, s[52:55], 0 offset:308 ; 4-byte Folded Reload
	;; [unrolled: 17-line block ×15, first 2 shown]
	s_waitcnt vmcnt(1)
	v_add_co_u32_e32 v7, vcc, s8, v7
	s_waitcnt vmcnt(0)
	v_addc_co_u32_e32 v8, vcc, v1, v8, vcc
	s_waitcnt lgkmcnt(0)
	global_store_dwordx2 v[7:8], v[3:4], off
	buffer_load_dword v3, off, s[52:55], 0 offset:520 ; 4-byte Folded Reload
	s_nop 0
	buffer_load_dword v4, off, s[52:55], 0 offset:524 ; 4-byte Folded Reload
	s_waitcnt vmcnt(1)
	v_add_co_u32_e32 v3, vcc, s8, v3
	s_waitcnt vmcnt(0)
	v_addc_co_u32_e32 v4, vcc, v1, v4, vcc
	global_store_dwordx2 v[3:4], v[5:6], off
	s_branch .LBB1_1
.LBB1_69:
	s_endpgm
	.section	.rodata,"a",@progbits
	.p2align	6, 0x0
	.amdhsa_kernel _Z21bit_rev_permutation_zPlPKlj
		.amdhsa_group_segment_fixed_size 0
		.amdhsa_private_segment_fixed_size 532
		.amdhsa_kernarg_size 280
		.amdhsa_user_sgpr_count 6
		.amdhsa_user_sgpr_private_segment_buffer 1
		.amdhsa_user_sgpr_dispatch_ptr 0
		.amdhsa_user_sgpr_queue_ptr 0
		.amdhsa_user_sgpr_kernarg_segment_ptr 1
		.amdhsa_user_sgpr_dispatch_id 0
		.amdhsa_user_sgpr_flat_scratch_init 0
		.amdhsa_user_sgpr_private_segment_size 0
		.amdhsa_uses_dynamic_stack 0
		.amdhsa_system_sgpr_private_segment_wavefront_offset 1
		.amdhsa_system_sgpr_workgroup_id_x 1
		.amdhsa_system_sgpr_workgroup_id_y 0
		.amdhsa_system_sgpr_workgroup_id_z 0
		.amdhsa_system_sgpr_workgroup_info 0
		.amdhsa_system_vgpr_workitem_id 0
		.amdhsa_next_free_vgpr 64
		.amdhsa_next_free_sgpr 56
		.amdhsa_reserve_vcc 1
		.amdhsa_reserve_flat_scratch 0
		.amdhsa_float_round_mode_32 0
		.amdhsa_float_round_mode_16_64 0
		.amdhsa_float_denorm_mode_32 3
		.amdhsa_float_denorm_mode_16_64 3
		.amdhsa_dx10_clamp 1
		.amdhsa_ieee_mode 1
		.amdhsa_fp16_overflow 0
		.amdhsa_exception_fp_ieee_invalid_op 0
		.amdhsa_exception_fp_denorm_src 0
		.amdhsa_exception_fp_ieee_div_zero 0
		.amdhsa_exception_fp_ieee_overflow 0
		.amdhsa_exception_fp_ieee_underflow 0
		.amdhsa_exception_fp_ieee_inexact 0
		.amdhsa_exception_int_div_zero 0
	.end_amdhsa_kernel
	.text
.Lfunc_end1:
	.size	_Z21bit_rev_permutation_zPlPKlj, .Lfunc_end1-_Z21bit_rev_permutation_zPlPKlj
                                        ; -- End function
	.set _Z21bit_rev_permutation_zPlPKlj.num_vgpr, 64
	.set _Z21bit_rev_permutation_zPlPKlj.num_agpr, 0
	.set _Z21bit_rev_permutation_zPlPKlj.numbered_sgpr, 56
	.set _Z21bit_rev_permutation_zPlPKlj.num_named_barrier, 0
	.set _Z21bit_rev_permutation_zPlPKlj.private_seg_size, 532
	.set _Z21bit_rev_permutation_zPlPKlj.uses_vcc, 1
	.set _Z21bit_rev_permutation_zPlPKlj.uses_flat_scratch, 0
	.set _Z21bit_rev_permutation_zPlPKlj.has_dyn_sized_stack, 0
	.set _Z21bit_rev_permutation_zPlPKlj.has_recursion, 0
	.set _Z21bit_rev_permutation_zPlPKlj.has_indirect_call, 0
	.section	.AMDGPU.csdata,"",@progbits
; Kernel info:
; codeLenInByte = 9756
; TotalNumSgprs: 60
; NumVgprs: 64
; ScratchSize: 532
; MemoryBound: 0
; FloatMode: 240
; IeeeMode: 1
; LDSByteSize: 0 bytes/workgroup (compile time only)
; SGPRBlocks: 7
; VGPRBlocks: 15
; NumSGPRsForWavesPerEU: 60
; NumVGPRsForWavesPerEU: 64
; Occupancy: 4
; WaveLimiterHint : 0
; COMPUTE_PGM_RSRC2:SCRATCH_EN: 1
; COMPUTE_PGM_RSRC2:USER_SGPR: 6
; COMPUTE_PGM_RSRC2:TRAP_HANDLER: 0
; COMPUTE_PGM_RSRC2:TGID_X_EN: 1
; COMPUTE_PGM_RSRC2:TGID_Y_EN: 0
; COMPUTE_PGM_RSRC2:TGID_Z_EN: 0
; COMPUTE_PGM_RSRC2:TIDIG_COMP_CNT: 0
	.section	.AMDGPU.gpr_maximums,"",@progbits
	.set amdgpu.max_num_vgpr, 0
	.set amdgpu.max_num_agpr, 0
	.set amdgpu.max_num_sgpr, 0
	.section	.AMDGPU.csdata,"",@progbits
	.type	__hip_cuid_3574d5fba87496aa,@object ; @__hip_cuid_3574d5fba87496aa
	.section	.bss,"aw",@nobits
	.globl	__hip_cuid_3574d5fba87496aa
__hip_cuid_3574d5fba87496aa:
	.byte	0                               ; 0x0
	.size	__hip_cuid_3574d5fba87496aa, 1

	.ident	"AMD clang version 22.0.0git (https://github.com/RadeonOpenCompute/llvm-project roc-7.2.4 26084 f58b06dce1f9c15707c5f808fd002e18c2accf7e)"
	.section	".note.GNU-stack","",@progbits
	.addrsig
	.addrsig_sym __hip_cuid_3574d5fba87496aa
	.amdgpu_metadata
---
amdhsa.kernels:
  - .args:
      - .address_space:  global
        .offset:         0
        .size:           8
        .value_kind:     global_buffer
      - .address_space:  global
        .offset:         8
        .size:           8
        .value_kind:     global_buffer
      - .offset:         16
        .size:           4
        .value_kind:     by_value
      - .offset:         24
        .size:           4
        .value_kind:     hidden_block_count_x
      - .offset:         28
        .size:           4
        .value_kind:     hidden_block_count_y
      - .offset:         32
        .size:           4
        .value_kind:     hidden_block_count_z
      - .offset:         36
        .size:           2
        .value_kind:     hidden_group_size_x
      - .offset:         38
        .size:           2
        .value_kind:     hidden_group_size_y
      - .offset:         40
        .size:           2
        .value_kind:     hidden_group_size_z
      - .offset:         42
        .size:           2
        .value_kind:     hidden_remainder_x
      - .offset:         44
        .size:           2
        .value_kind:     hidden_remainder_y
      - .offset:         46
        .size:           2
        .value_kind:     hidden_remainder_z
      - .offset:         64
        .size:           8
        .value_kind:     hidden_global_offset_x
      - .offset:         72
        .size:           8
        .value_kind:     hidden_global_offset_y
      - .offset:         80
        .size:           8
        .value_kind:     hidden_global_offset_z
      - .offset:         88
        .size:           2
        .value_kind:     hidden_grid_dims
    .group_segment_fixed_size: 0
    .kernarg_segment_align: 8
    .kernarg_segment_size: 280
    .language:       OpenCL C
    .language_version:
      - 2
      - 0
    .max_flat_workgroup_size: 1024
    .name:           _Z19bit_rev_permutationPlPKlj
    .private_segment_fixed_size: 0
    .sgpr_count:     20
    .sgpr_spill_count: 0
    .symbol:         _Z19bit_rev_permutationPlPKlj.kd
    .uniform_work_group_size: 1
    .uses_dynamic_stack: false
    .vgpr_count:     10
    .vgpr_spill_count: 0
    .wavefront_size: 64
  - .args:
      - .address_space:  global
        .offset:         0
        .size:           8
        .value_kind:     global_buffer
      - .address_space:  global
        .offset:         8
        .size:           8
        .value_kind:     global_buffer
      - .offset:         16
        .size:           4
        .value_kind:     by_value
      - .offset:         24
        .size:           4
        .value_kind:     hidden_block_count_x
      - .offset:         28
        .size:           4
        .value_kind:     hidden_block_count_y
      - .offset:         32
        .size:           4
        .value_kind:     hidden_block_count_z
      - .offset:         36
        .size:           2
        .value_kind:     hidden_group_size_x
      - .offset:         38
        .size:           2
        .value_kind:     hidden_group_size_y
      - .offset:         40
        .size:           2
        .value_kind:     hidden_group_size_z
      - .offset:         42
        .size:           2
        .value_kind:     hidden_remainder_x
      - .offset:         44
        .size:           2
        .value_kind:     hidden_remainder_y
      - .offset:         46
        .size:           2
        .value_kind:     hidden_remainder_z
      - .offset:         64
        .size:           8
        .value_kind:     hidden_global_offset_x
      - .offset:         72
        .size:           8
        .value_kind:     hidden_global_offset_y
      - .offset:         80
        .size:           8
        .value_kind:     hidden_global_offset_z
      - .offset:         88
        .size:           2
        .value_kind:     hidden_grid_dims
      - .offset:         144
        .size:           4
        .value_kind:     hidden_dynamic_lds_size
    .group_segment_fixed_size: 0
    .kernarg_segment_align: 8
    .kernarg_segment_size: 280
    .language:       OpenCL C
    .language_version:
      - 2
      - 0
    .max_flat_workgroup_size: 1024
    .name:           _Z21bit_rev_permutation_zPlPKlj
    .private_segment_fixed_size: 532
    .sgpr_count:     60
    .sgpr_spill_count: 0
    .symbol:         _Z21bit_rev_permutation_zPlPKlj.kd
    .uniform_work_group_size: 1
    .uses_dynamic_stack: false
    .vgpr_count:     64
    .vgpr_spill_count: 198
    .wavefront_size: 64
amdhsa.target:   amdgcn-amd-amdhsa--gfx906
amdhsa.version:
  - 1
  - 2
...

	.end_amdgpu_metadata
